;; amdgpu-corpus repo=ROCm/rocFFT kind=compiled arch=gfx906 opt=O3
	.text
	.amdgcn_target "amdgcn-amd-amdhsa--gfx906"
	.amdhsa_code_object_version 6
	.protected	fft_rtc_fwd_len1232_factors_2_2_2_2_11_7_wgs_176_tpt_176_halfLds_dp_ip_CI_unitstride_sbrr_R2C_dirReg ; -- Begin function fft_rtc_fwd_len1232_factors_2_2_2_2_11_7_wgs_176_tpt_176_halfLds_dp_ip_CI_unitstride_sbrr_R2C_dirReg
	.globl	fft_rtc_fwd_len1232_factors_2_2_2_2_11_7_wgs_176_tpt_176_halfLds_dp_ip_CI_unitstride_sbrr_R2C_dirReg
	.p2align	8
	.type	fft_rtc_fwd_len1232_factors_2_2_2_2_11_7_wgs_176_tpt_176_halfLds_dp_ip_CI_unitstride_sbrr_R2C_dirReg,@function
fft_rtc_fwd_len1232_factors_2_2_2_2_11_7_wgs_176_tpt_176_halfLds_dp_ip_CI_unitstride_sbrr_R2C_dirReg: ; @fft_rtc_fwd_len1232_factors_2_2_2_2_11_7_wgs_176_tpt_176_halfLds_dp_ip_CI_unitstride_sbrr_R2C_dirReg
; %bb.0:
	s_load_dwordx2 s[12:13], s[4:5], 0x50
	s_load_dwordx4 s[8:11], s[4:5], 0x0
	s_load_dwordx2 s[2:3], s[4:5], 0x18
	v_mul_u32_u24_e32 v1, 0x175, v0
	v_add_u32_sdwa v5, s6, v1 dst_sel:DWORD dst_unused:UNUSED_PAD src0_sel:DWORD src1_sel:WORD_1
	v_mov_b32_e32 v3, 0
	s_waitcnt lgkmcnt(0)
	v_cmp_lt_u64_e64 s[0:1], s[10:11], 2
	v_mov_b32_e32 v1, 0
	v_mov_b32_e32 v6, v3
	s_and_b64 vcc, exec, s[0:1]
	v_mov_b32_e32 v2, 0
	s_cbranch_vccnz .LBB0_8
; %bb.1:
	s_load_dwordx2 s[0:1], s[4:5], 0x10
	s_add_u32 s6, s2, 8
	s_addc_u32 s7, s3, 0
	v_mov_b32_e32 v1, 0
	v_mov_b32_e32 v2, 0
	s_waitcnt lgkmcnt(0)
	s_add_u32 s14, s0, 8
	s_addc_u32 s15, s1, 0
	s_mov_b64 s[16:17], 1
.LBB0_2:                                ; =>This Inner Loop Header: Depth=1
	s_load_dwordx2 s[18:19], s[14:15], 0x0
                                        ; implicit-def: $vgpr7_vgpr8
	s_waitcnt lgkmcnt(0)
	v_or_b32_e32 v4, s19, v6
	v_cmp_ne_u64_e32 vcc, 0, v[3:4]
	s_and_saveexec_b64 s[0:1], vcc
	s_xor_b64 s[20:21], exec, s[0:1]
	s_cbranch_execz .LBB0_4
; %bb.3:                                ;   in Loop: Header=BB0_2 Depth=1
	v_cvt_f32_u32_e32 v4, s18
	v_cvt_f32_u32_e32 v7, s19
	s_sub_u32 s0, 0, s18
	s_subb_u32 s1, 0, s19
	v_mac_f32_e32 v4, 0x4f800000, v7
	v_rcp_f32_e32 v4, v4
	v_mul_f32_e32 v4, 0x5f7ffffc, v4
	v_mul_f32_e32 v7, 0x2f800000, v4
	v_trunc_f32_e32 v7, v7
	v_mac_f32_e32 v4, 0xcf800000, v7
	v_cvt_u32_f32_e32 v7, v7
	v_cvt_u32_f32_e32 v4, v4
	v_mul_lo_u32 v8, s0, v7
	v_mul_hi_u32 v9, s0, v4
	v_mul_lo_u32 v11, s1, v4
	v_mul_lo_u32 v10, s0, v4
	v_add_u32_e32 v8, v9, v8
	v_add_u32_e32 v8, v8, v11
	v_mul_hi_u32 v9, v4, v10
	v_mul_lo_u32 v11, v4, v8
	v_mul_hi_u32 v13, v4, v8
	v_mul_hi_u32 v12, v7, v10
	v_mul_lo_u32 v10, v7, v10
	v_mul_hi_u32 v14, v7, v8
	v_add_co_u32_e32 v9, vcc, v9, v11
	v_addc_co_u32_e32 v11, vcc, 0, v13, vcc
	v_mul_lo_u32 v8, v7, v8
	v_add_co_u32_e32 v9, vcc, v9, v10
	v_addc_co_u32_e32 v9, vcc, v11, v12, vcc
	v_addc_co_u32_e32 v10, vcc, 0, v14, vcc
	v_add_co_u32_e32 v8, vcc, v9, v8
	v_addc_co_u32_e32 v9, vcc, 0, v10, vcc
	v_add_co_u32_e32 v4, vcc, v4, v8
	v_addc_co_u32_e32 v7, vcc, v7, v9, vcc
	v_mul_lo_u32 v8, s0, v7
	v_mul_hi_u32 v9, s0, v4
	v_mul_lo_u32 v10, s1, v4
	v_mul_lo_u32 v11, s0, v4
	v_add_u32_e32 v8, v9, v8
	v_add_u32_e32 v8, v8, v10
	v_mul_lo_u32 v12, v4, v8
	v_mul_hi_u32 v13, v4, v11
	v_mul_hi_u32 v14, v4, v8
	;; [unrolled: 1-line block ×3, first 2 shown]
	v_mul_lo_u32 v11, v7, v11
	v_mul_hi_u32 v9, v7, v8
	v_add_co_u32_e32 v12, vcc, v13, v12
	v_addc_co_u32_e32 v13, vcc, 0, v14, vcc
	v_mul_lo_u32 v8, v7, v8
	v_add_co_u32_e32 v11, vcc, v12, v11
	v_addc_co_u32_e32 v10, vcc, v13, v10, vcc
	v_addc_co_u32_e32 v9, vcc, 0, v9, vcc
	v_add_co_u32_e32 v8, vcc, v10, v8
	v_addc_co_u32_e32 v9, vcc, 0, v9, vcc
	v_add_co_u32_e32 v4, vcc, v4, v8
	v_addc_co_u32_e32 v9, vcc, v7, v9, vcc
	v_mad_u64_u32 v[7:8], s[0:1], v5, v9, 0
	v_mul_hi_u32 v10, v5, v4
	v_add_co_u32_e32 v11, vcc, v10, v7
	v_addc_co_u32_e32 v12, vcc, 0, v8, vcc
	v_mad_u64_u32 v[7:8], s[0:1], v6, v4, 0
	v_mad_u64_u32 v[9:10], s[0:1], v6, v9, 0
	v_add_co_u32_e32 v4, vcc, v11, v7
	v_addc_co_u32_e32 v4, vcc, v12, v8, vcc
	v_addc_co_u32_e32 v7, vcc, 0, v10, vcc
	v_add_co_u32_e32 v4, vcc, v4, v9
	v_addc_co_u32_e32 v9, vcc, 0, v7, vcc
	v_mul_lo_u32 v10, s19, v4
	v_mul_lo_u32 v11, s18, v9
	v_mad_u64_u32 v[7:8], s[0:1], s18, v4, 0
	v_add3_u32 v8, v8, v11, v10
	v_sub_u32_e32 v10, v6, v8
	v_mov_b32_e32 v11, s19
	v_sub_co_u32_e32 v7, vcc, v5, v7
	v_subb_co_u32_e64 v10, s[0:1], v10, v11, vcc
	v_subrev_co_u32_e64 v11, s[0:1], s18, v7
	v_subbrev_co_u32_e64 v10, s[0:1], 0, v10, s[0:1]
	v_cmp_le_u32_e64 s[0:1], s19, v10
	v_cndmask_b32_e64 v12, 0, -1, s[0:1]
	v_cmp_le_u32_e64 s[0:1], s18, v11
	v_cndmask_b32_e64 v11, 0, -1, s[0:1]
	v_cmp_eq_u32_e64 s[0:1], s19, v10
	v_cndmask_b32_e64 v10, v12, v11, s[0:1]
	v_add_co_u32_e64 v11, s[0:1], 2, v4
	v_addc_co_u32_e64 v12, s[0:1], 0, v9, s[0:1]
	v_add_co_u32_e64 v13, s[0:1], 1, v4
	v_addc_co_u32_e64 v14, s[0:1], 0, v9, s[0:1]
	v_subb_co_u32_e32 v8, vcc, v6, v8, vcc
	v_cmp_ne_u32_e64 s[0:1], 0, v10
	v_cmp_le_u32_e32 vcc, s19, v8
	v_cndmask_b32_e64 v10, v14, v12, s[0:1]
	v_cndmask_b32_e64 v12, 0, -1, vcc
	v_cmp_le_u32_e32 vcc, s18, v7
	v_cndmask_b32_e64 v7, 0, -1, vcc
	v_cmp_eq_u32_e32 vcc, s19, v8
	v_cndmask_b32_e32 v7, v12, v7, vcc
	v_cmp_ne_u32_e32 vcc, 0, v7
	v_cndmask_b32_e64 v7, v13, v11, s[0:1]
	v_cndmask_b32_e32 v8, v9, v10, vcc
	v_cndmask_b32_e32 v7, v4, v7, vcc
.LBB0_4:                                ;   in Loop: Header=BB0_2 Depth=1
	s_andn2_saveexec_b64 s[0:1], s[20:21]
	s_cbranch_execz .LBB0_6
; %bb.5:                                ;   in Loop: Header=BB0_2 Depth=1
	v_cvt_f32_u32_e32 v4, s18
	s_sub_i32 s20, 0, s18
	v_rcp_iflag_f32_e32 v4, v4
	v_mul_f32_e32 v4, 0x4f7ffffe, v4
	v_cvt_u32_f32_e32 v4, v4
	v_mul_lo_u32 v7, s20, v4
	v_mul_hi_u32 v7, v4, v7
	v_add_u32_e32 v4, v4, v7
	v_mul_hi_u32 v4, v5, v4
	v_mul_lo_u32 v7, v4, s18
	v_add_u32_e32 v8, 1, v4
	v_sub_u32_e32 v7, v5, v7
	v_subrev_u32_e32 v9, s18, v7
	v_cmp_le_u32_e32 vcc, s18, v7
	v_cndmask_b32_e32 v7, v7, v9, vcc
	v_cndmask_b32_e32 v4, v4, v8, vcc
	v_add_u32_e32 v8, 1, v4
	v_cmp_le_u32_e32 vcc, s18, v7
	v_cndmask_b32_e32 v7, v4, v8, vcc
	v_mov_b32_e32 v8, v3
.LBB0_6:                                ;   in Loop: Header=BB0_2 Depth=1
	s_or_b64 exec, exec, s[0:1]
	v_mul_lo_u32 v4, v8, s18
	v_mul_lo_u32 v11, v7, s19
	v_mad_u64_u32 v[9:10], s[0:1], v7, s18, 0
	s_load_dwordx2 s[0:1], s[6:7], 0x0
	s_add_u32 s16, s16, 1
	v_add3_u32 v4, v10, v11, v4
	v_sub_co_u32_e32 v5, vcc, v5, v9
	v_subb_co_u32_e32 v4, vcc, v6, v4, vcc
	s_waitcnt lgkmcnt(0)
	v_mul_lo_u32 v4, s0, v4
	v_mul_lo_u32 v6, s1, v5
	v_mad_u64_u32 v[1:2], s[0:1], s0, v5, v[1:2]
	s_addc_u32 s17, s17, 0
	s_add_u32 s6, s6, 8
	v_add3_u32 v2, v6, v2, v4
	v_mov_b32_e32 v4, s10
	v_mov_b32_e32 v5, s11
	s_addc_u32 s7, s7, 0
	v_cmp_ge_u64_e32 vcc, s[16:17], v[4:5]
	s_add_u32 s14, s14, 8
	s_addc_u32 s15, s15, 0
	s_cbranch_vccnz .LBB0_9
; %bb.7:                                ;   in Loop: Header=BB0_2 Depth=1
	v_mov_b32_e32 v5, v7
	v_mov_b32_e32 v6, v8
	s_branch .LBB0_2
.LBB0_8:
	v_mov_b32_e32 v8, v6
	v_mov_b32_e32 v7, v5
.LBB0_9:
	s_lshl_b64 s[0:1], s[10:11], 3
	s_add_u32 s0, s2, s0
	s_addc_u32 s1, s3, s1
	s_load_dwordx2 s[2:3], s[0:1], 0x0
	s_load_dwordx2 s[6:7], s[4:5], 0x20
                                        ; implicit-def: $vgpr49
                                        ; implicit-def: $vgpr51
                                        ; implicit-def: $vgpr48
	s_waitcnt lgkmcnt(0)
	v_mad_u64_u32 v[1:2], s[0:1], s2, v7, v[1:2]
	s_mov_b32 s0, 0x1745d18
	v_mul_lo_u32 v3, s2, v8
	v_mul_lo_u32 v4, s3, v7
	v_mul_hi_u32 v5, v0, s0
	v_cmp_gt_u64_e64 s[0:1], s[6:7], v[7:8]
	v_cmp_le_u64_e32 vcc, s[6:7], v[7:8]
	v_add3_u32 v2, v4, v2, v3
	v_mul_u32_u24_e32 v3, 0xb0, v5
	v_sub_u32_e32 v44, v0, v3
	s_and_saveexec_b64 s[2:3], vcc
	s_xor_b64 s[2:3], exec, s[2:3]
; %bb.10:
	v_add_u32_e32 v49, 0xb0, v44
	v_add_u32_e32 v51, 0x160, v44
	;; [unrolled: 1-line block ×3, first 2 shown]
; %bb.11:
	s_or_saveexec_b64 s[2:3], s[2:3]
	v_lshlrev_b64 v[46:47], 4, v[1:2]
	s_xor_b64 exec, exec, s[2:3]
	s_cbranch_execz .LBB0_13
; %bb.12:
	v_mov_b32_e32 v45, 0
	v_mov_b32_e32 v0, s13
	v_add_co_u32_e32 v2, vcc, s12, v46
	v_addc_co_u32_e32 v3, vcc, v0, v47, vcc
	v_lshlrev_b64 v[0:1], 4, v[44:45]
	s_movk_i32 s4, 0x1000
	v_add_co_u32_e32 v20, vcc, v2, v0
	v_addc_co_u32_e32 v21, vcc, v3, v1, vcc
	v_add_co_u32_e32 v16, vcc, s4, v20
	v_addc_co_u32_e32 v17, vcc, 0, v21, vcc
	s_movk_i32 s4, 0x2000
	v_add_co_u32_e32 v18, vcc, s4, v20
	v_addc_co_u32_e32 v19, vcc, 0, v21, vcc
	v_add_co_u32_e32 v28, vcc, 0x3000, v20
	v_addc_co_u32_e32 v29, vcc, 0, v21, vcc
	v_add_co_u32_e32 v30, vcc, 0x4000, v20
	global_load_dwordx4 v[0:3], v[20:21], off
	global_load_dwordx4 v[4:7], v[20:21], off offset:2816
	global_load_dwordx4 v[8:11], v[16:17], off offset:1536
	;; [unrolled: 1-line block ×3, first 2 shown]
	v_addc_co_u32_e32 v31, vcc, 0, v21, vcc
	global_load_dwordx4 v[16:19], v[18:19], off offset:3072
	s_nop 0
	global_load_dwordx4 v[20:23], v[28:29], off offset:1792
	global_load_dwordx4 v[24:27], v[30:31], off offset:512
	v_lshl_add_u32 v28, v44, 4, 0
	v_add_u32_e32 v49, 0xb0, v44
	v_add_u32_e32 v51, 0x160, v44
	;; [unrolled: 1-line block ×3, first 2 shown]
	s_waitcnt vmcnt(6)
	ds_write_b128 v28, v[0:3]
	s_waitcnt vmcnt(5)
	ds_write_b128 v28, v[4:7] offset:2816
	s_waitcnt vmcnt(4)
	ds_write_b128 v28, v[8:11] offset:5632
	;; [unrolled: 2-line block ×6, first 2 shown]
.LBB0_13:
	s_or_b64 exec, exec, s[2:3]
	v_lshlrev_b32_e32 v45, 4, v44
	v_add_u32_e32 v100, 0, v45
	s_waitcnt lgkmcnt(0)
	s_barrier
	ds_read_b128 v[0:3], v100 offset:9856
	ds_read_b128 v[4:7], v100
	ds_read_b128 v[8:11], v100 offset:2816
	ds_read_b128 v[12:15], v100 offset:12672
	;; [unrolled: 1-line block ×4, first 2 shown]
	v_add_u32_e32 v36, v100, v45
	s_waitcnt lgkmcnt(4)
	v_add_f64 v[0:1], v[4:5], -v[0:1]
	v_add_f64 v[2:3], v[6:7], -v[2:3]
	s_waitcnt lgkmcnt(2)
	v_add_f64 v[12:13], v[8:9], -v[12:13]
	v_add_f64 v[14:15], v[10:11], -v[14:15]
	s_movk_i32 s2, 0x58
	v_lshl_add_u32 v37, v51, 5, 0
	v_cmp_gt_u32_e32 vcc, s2, v44
	v_fma_f64 v[24:25], v[4:5], 2.0, -v[0:1]
	v_fma_f64 v[26:27], v[6:7], 2.0, -v[2:3]
	ds_read_b128 v[4:7], v100 offset:15488
	ds_read_b128 v[28:31], v100 offset:18304
	s_waitcnt lgkmcnt(0)
	s_barrier
	v_add_f64 v[32:33], v[16:17], -v[4:5]
	v_add_f64 v[34:35], v[18:19], -v[6:7]
	;; [unrolled: 1-line block ×4, first 2 shown]
	v_fma_f64 v[8:9], v[8:9], 2.0, -v[12:13]
	v_fma_f64 v[10:11], v[10:11], 2.0, -v[14:15]
	ds_write_b128 v36, v[0:3] offset:16
	ds_write_b128 v36, v[24:27]
	v_fma_f64 v[16:17], v[16:17], 2.0, -v[32:33]
	v_fma_f64 v[18:19], v[18:19], 2.0, -v[34:35]
	v_fma_f64 v[0:1], v[20:21], 2.0, -v[4:5]
	v_fma_f64 v[2:3], v[22:23], 2.0, -v[6:7]
	v_lshl_add_u32 v36, v49, 5, 0
	ds_write_b128 v36, v[8:11]
	ds_write_b128 v36, v[12:15] offset:16
	ds_write_b128 v37, v[16:19]
	ds_write_b128 v37, v[32:35] offset:16
	s_and_saveexec_b64 s[2:3], vcc
	s_cbranch_execz .LBB0_15
; %bb.14:
	v_lshl_add_u32 v8, v48, 5, 0
	ds_write_b128 v8, v[0:3]
	ds_write_b128 v8, v[4:7] offset:16
.LBB0_15:
	s_or_b64 exec, exec, s[2:3]
	v_lshlrev_b32_e32 v34, 4, v49
	v_lshlrev_b32_e32 v35, 4, v51
	v_sub_u32_e32 v12, v36, v34
	v_sub_u32_e32 v13, v37, v35
	s_waitcnt lgkmcnt(0)
	s_barrier
	ds_read_b128 v[8:11], v100
	ds_read_b128 v[20:23], v100 offset:9856
	ds_read_b128 v[16:19], v12
	ds_read_b128 v[12:15], v13
	ds_read_b128 v[28:31], v100 offset:12672
	ds_read_b128 v[24:27], v100 offset:15488
	v_lshlrev_b32_e32 v33, 1, v49
	v_lshlrev_b32_e32 v32, 1, v51
	v_lshl_add_u32 v101, v48, 4, 0
	s_and_saveexec_b64 s[2:3], vcc
	s_cbranch_execz .LBB0_17
; %bb.16:
	ds_read_b128 v[0:3], v101
	ds_read_b128 v[4:7], v100 offset:18304
.LBB0_17:
	s_or_b64 exec, exec, s[2:3]
	v_and_b32_e32 v38, 1, v44
	v_lshlrev_b32_e32 v39, 4, v38
	global_load_dwordx4 v[52:55], v39, s[8:9]
	s_movk_i32 s3, 0x3fc
	v_and_or_b32 v41, v33, s3, v38
	v_lshl_add_u32 v50, v41, 4, 0
	v_sub_u32_e32 v39, 0, v35
	v_lshlrev_b32_e32 v35, 1, v44
	s_movk_i32 s2, 0x1fc
	v_sub_u32_e32 v40, 0, v34
	s_movk_i32 s4, 0x7fc
	v_and_or_b32 v34, v35, s2, v38
	v_and_or_b32 v43, v32, s4, v38
	v_lshl_add_u32 v34, v34, 4, 0
	s_waitcnt vmcnt(0) lgkmcnt(0)
	s_barrier
	v_mul_f64 v[41:42], v[22:23], v[54:55]
	v_mul_f64 v[56:57], v[20:21], v[54:55]
	;; [unrolled: 1-line block ×8, first 2 shown]
	v_fma_f64 v[20:21], v[20:21], v[52:53], -v[41:42]
	v_fma_f64 v[22:23], v[22:23], v[52:53], v[56:57]
	v_fma_f64 v[28:29], v[28:29], v[52:53], -v[58:59]
	v_fma_f64 v[30:31], v[30:31], v[52:53], v[60:61]
	;; [unrolled: 2-line block ×4, first 2 shown]
	v_add_f64 v[20:21], v[8:9], -v[20:21]
	v_add_f64 v[22:23], v[10:11], -v[22:23]
	;; [unrolled: 1-line block ×8, first 2 shown]
	v_fma_f64 v[8:9], v[8:9], 2.0, -v[20:21]
	v_fma_f64 v[10:11], v[10:11], 2.0, -v[22:23]
	v_fma_f64 v[16:17], v[16:17], 2.0, -v[24:25]
	v_fma_f64 v[18:19], v[18:19], 2.0, -v[26:27]
	v_fma_f64 v[12:13], v[12:13], 2.0, -v[28:29]
	v_fma_f64 v[14:15], v[14:15], 2.0, -v[30:31]
	v_fma_f64 v[0:1], v[0:1], 2.0, -v[4:5]
	v_fma_f64 v[2:3], v[2:3], 2.0, -v[6:7]
	v_lshl_add_u32 v41, v43, 4, 0
	ds_write_b128 v34, v[20:23] offset:32
	ds_write_b128 v34, v[8:11]
	ds_write_b128 v50, v[16:19]
	ds_write_b128 v50, v[24:27] offset:32
	ds_write_b128 v41, v[12:15]
	ds_write_b128 v41, v[28:31] offset:32
	v_lshlrev_b32_e32 v34, 1, v48
	s_and_saveexec_b64 s[2:3], vcc
	s_cbranch_execz .LBB0_19
; %bb.18:
	s_movk_i32 s4, 0x5fc
	v_and_or_b32 v8, v34, s4, v38
	v_lshl_add_u32 v8, v8, 4, 0
	ds_write_b128 v8, v[0:3]
	ds_write_b128 v8, v[4:7] offset:32
.LBB0_19:
	s_or_b64 exec, exec, s[2:3]
	v_add_u32_e32 v103, v36, v40
	s_waitcnt lgkmcnt(0)
	s_barrier
	ds_read_b128 v[8:11], v100
	ds_read_b128 v[20:23], v100 offset:9856
	v_add_u32_e32 v102, v37, v39
	ds_read_b128 v[16:19], v103
	ds_read_b128 v[12:15], v102
	ds_read_b128 v[28:31], v100 offset:12672
	ds_read_b128 v[24:27], v100 offset:15488
	s_and_saveexec_b64 s[2:3], vcc
	s_cbranch_execz .LBB0_21
; %bb.20:
	ds_read_b128 v[0:3], v101
	ds_read_b128 v[4:7], v100 offset:18304
.LBB0_21:
	s_or_b64 exec, exec, s[2:3]
	v_and_b32_e32 v36, 3, v44
	v_lshlrev_b32_e32 v37, 4, v36
	global_load_dwordx4 v[37:40], v37, s[8:9] offset:32
	s_movk_i32 s2, 0x1f8
	s_movk_i32 s3, 0x3f8
	v_and_or_b32 v41, v35, s2, v36
	v_and_or_b32 v42, v33, s3, v36
	v_lshl_add_u32 v50, v41, 4, 0
	v_lshl_add_u32 v64, v42, 4, 0
	s_movk_i32 s4, 0x7f8
	v_and_or_b32 v43, v32, s4, v36
	s_waitcnt vmcnt(0) lgkmcnt(0)
	s_barrier
	v_mul_f64 v[41:42], v[22:23], v[39:40]
	v_mul_f64 v[52:53], v[20:21], v[39:40]
	;; [unrolled: 1-line block ×8, first 2 shown]
	v_fma_f64 v[20:21], v[20:21], v[37:38], -v[41:42]
	v_fma_f64 v[22:23], v[22:23], v[37:38], v[52:53]
	v_fma_f64 v[28:29], v[28:29], v[37:38], -v[54:55]
	v_fma_f64 v[30:31], v[30:31], v[37:38], v[56:57]
	;; [unrolled: 2-line block ×4, first 2 shown]
	v_add_f64 v[20:21], v[8:9], -v[20:21]
	v_add_f64 v[22:23], v[10:11], -v[22:23]
	;; [unrolled: 1-line block ×8, first 2 shown]
	v_fma_f64 v[8:9], v[8:9], 2.0, -v[20:21]
	v_fma_f64 v[10:11], v[10:11], 2.0, -v[22:23]
	;; [unrolled: 1-line block ×8, first 2 shown]
	v_lshl_add_u32 v0, v43, 4, 0
	ds_write_b128 v50, v[20:23] offset:64
	ds_write_b128 v50, v[8:11]
	ds_write_b128 v64, v[16:19]
	ds_write_b128 v64, v[28:31] offset:64
	ds_write_b128 v0, v[12:15]
	ds_write_b128 v0, v[37:40] offset:64
	s_and_saveexec_b64 s[2:3], vcc
	s_cbranch_execz .LBB0_23
; %bb.22:
	s_movk_i32 s4, 0x5f8
	v_and_or_b32 v0, v34, s4, v36
	v_lshl_add_u32 v0, v0, 4, 0
	ds_write_b128 v0, v[24:27]
	ds_write_b128 v0, v[4:7] offset:64
.LBB0_23:
	s_or_b64 exec, exec, s[2:3]
	s_waitcnt lgkmcnt(0)
	s_barrier
	ds_read_b128 v[0:3], v100
	ds_read_b128 v[20:23], v100 offset:9856
	ds_read_b128 v[8:11], v103
	ds_read_b128 v[16:19], v102
	ds_read_b128 v[28:31], v100 offset:12672
	ds_read_b128 v[12:15], v100 offset:15488
	s_and_saveexec_b64 s[2:3], vcc
	s_cbranch_execz .LBB0_25
; %bb.24:
	ds_read_b128 v[24:27], v101
	ds_read_b128 v[4:7], v100 offset:18304
.LBB0_25:
	s_or_b64 exec, exec, s[2:3]
	v_and_b32_e32 v36, 7, v44
	v_lshlrev_b32_e32 v37, 4, v36
	global_load_dwordx4 v[37:40], v37, s[8:9] offset:96
	s_movk_i32 s2, 0x1f0
	v_and_or_b32 v35, v35, s2, v36
	s_movk_i32 s2, 0x3f0
	v_and_or_b32 v33, v33, s2, v36
	;; [unrolled: 2-line block ×3, first 2 shown]
	v_lshl_add_u32 v35, v35, 4, 0
	v_lshl_add_u32 v33, v33, 4, 0
	;; [unrolled: 1-line block ×3, first 2 shown]
	s_waitcnt vmcnt(0) lgkmcnt(0)
	s_barrier
	v_mul_f64 v[41:42], v[22:23], v[39:40]
	v_fma_f64 v[41:42], v[20:21], v[37:38], -v[41:42]
	v_mul_f64 v[20:21], v[20:21], v[39:40]
	v_fma_f64 v[20:21], v[22:23], v[37:38], v[20:21]
	v_mul_f64 v[22:23], v[30:31], v[39:40]
	v_fma_f64 v[22:23], v[28:29], v[37:38], -v[22:23]
	v_mul_f64 v[28:29], v[28:29], v[39:40]
	v_fma_f64 v[28:29], v[30:31], v[37:38], v[28:29]
	;; [unrolled: 4-line block ×3, first 2 shown]
	v_mul_f64 v[12:13], v[6:7], v[39:40]
	v_add_f64 v[14:15], v[10:11], -v[28:29]
	v_fma_f64 v[54:55], v[4:5], v[37:38], -v[12:13]
	v_mul_f64 v[4:5], v[4:5], v[39:40]
	v_add_f64 v[12:13], v[8:9], -v[22:23]
	v_add_f64 v[22:23], v[18:19], -v[52:53]
	v_fma_f64 v[10:11], v[10:11], 2.0, -v[14:15]
	v_add_f64 v[28:29], v[24:25], -v[54:55]
	v_fma_f64 v[37:38], v[6:7], v[37:38], v[4:5]
	v_add_f64 v[4:5], v[0:1], -v[41:42]
	v_add_f64 v[6:7], v[2:3], -v[20:21]
	;; [unrolled: 1-line block ×3, first 2 shown]
	v_fma_f64 v[8:9], v[8:9], 2.0, -v[12:13]
	v_fma_f64 v[18:19], v[18:19], 2.0, -v[22:23]
	;; [unrolled: 1-line block ×3, first 2 shown]
	v_add_f64 v[30:31], v[26:27], -v[37:38]
	v_fma_f64 v[0:1], v[0:1], 2.0, -v[4:5]
	v_fma_f64 v[2:3], v[2:3], 2.0, -v[6:7]
	;; [unrolled: 1-line block ×3, first 2 shown]
	ds_write_b128 v35, v[0:3]
	ds_write_b128 v35, v[4:7] offset:128
	v_fma_f64 v[26:27], v[26:27], 2.0, -v[30:31]
	ds_write_b128 v33, v[8:11]
	ds_write_b128 v33, v[12:15] offset:128
	ds_write_b128 v32, v[16:19]
	ds_write_b128 v32, v[20:23] offset:128
	s_and_saveexec_b64 s[2:3], vcc
	s_cbranch_execz .LBB0_27
; %bb.26:
	s_movk_i32 s4, 0x5f0
	v_and_or_b32 v32, v34, s4, v36
	v_lshl_add_u32 v32, v32, 4, 0
	ds_write_b128 v32, v[24:27]
	ds_write_b128 v32, v[28:31] offset:128
.LBB0_27:
	s_or_b64 exec, exec, s[2:3]
	s_movk_i32 s2, 0x70
	v_cmp_gt_u32_e64 s[2:3], s2, v44
	s_waitcnt lgkmcnt(0)
	s_barrier
	s_waitcnt lgkmcnt(0)
                                        ; implicit-def: $vgpr42_vgpr43
                                        ; implicit-def: $vgpr38_vgpr39
                                        ; implicit-def: $vgpr34_vgpr35
	s_and_saveexec_b64 s[4:5], s[2:3]
	s_cbranch_execz .LBB0_29
; %bb.28:
	ds_read_b128 v[0:3], v100
	ds_read_b128 v[4:7], v100 offset:1792
	ds_read_b128 v[8:11], v100 offset:3584
	;; [unrolled: 1-line block ×10, first 2 shown]
.LBB0_29:
	s_or_b64 exec, exec, s[4:5]
	s_waitcnt lgkmcnt(0)
	s_barrier
	s_and_saveexec_b64 s[4:5], s[2:3]
	s_cbranch_execz .LBB0_31
; %bb.30:
	v_and_b32_e32 v50, 15, v44
	v_mul_u32_u24_e32 v52, 10, v50
	v_lshlrev_b32_e32 v56, 4, v52
	global_load_dwordx4 v[52:55], v56, s[8:9] offset:288
	global_load_dwordx4 v[60:63], v56, s[8:9] offset:304
	;; [unrolled: 1-line block ×10, first 2 shown]
	s_mov_b32 s2, 0x9bcd5057
	s_mov_b32 s3, 0xbfeeb42a
	;; [unrolled: 1-line block ×30, first 2 shown]
	s_waitcnt vmcnt(9)
	v_mul_f64 v[56:57], v[20:21], v[54:55]
	v_mul_f64 v[54:55], v[22:23], v[54:55]
	s_waitcnt vmcnt(8)
	v_mul_f64 v[80:81], v[24:25], v[62:63]
	v_mul_f64 v[62:63], v[26:27], v[62:63]
	;; [unrolled: 3-line block ×3, first 2 shown]
	s_waitcnt vmcnt(6)
	v_mul_f64 v[96:97], v[28:29], v[70:71]
	s_waitcnt vmcnt(2)
	v_mul_f64 v[114:115], v[4:5], v[90:91]
	;; [unrolled: 2-line block ×3, first 2 shown]
	v_mul_f64 v[98:99], v[30:31], v[70:71]
	v_mul_f64 v[112:113], v[8:9], v[78:79]
	;; [unrolled: 1-line block ×4, first 2 shown]
	s_waitcnt vmcnt(0)
	v_mul_f64 v[118:119], v[36:37], v[106:107]
	v_fma_f64 v[56:57], v[22:23], v[52:53], v[56:57]
	v_fma_f64 v[58:59], v[20:21], v[52:53], -v[54:55]
	v_fma_f64 v[52:53], v[26:27], v[60:61], v[80:81]
	v_fma_f64 v[54:55], v[24:25], v[60:61], -v[62:63]
	v_fma_f64 v[60:61], v[16:17], v[64:65], -v[66:67]
	v_fma_f64 v[24:25], v[30:31], v[68:69], v[96:97]
	v_fma_f64 v[96:97], v[6:7], v[88:89], v[114:115]
	;; [unrolled: 1-line block ×3, first 2 shown]
	v_mul_f64 v[108:109], v[12:13], v[74:75]
	v_mul_f64 v[74:75], v[14:15], v[74:75]
	;; [unrolled: 1-line block ×6, first 2 shown]
	v_fma_f64 v[70:71], v[18:19], v[64:65], v[86:87]
	v_fma_f64 v[26:27], v[28:29], v[68:69], -v[98:99]
	v_fma_f64 v[86:87], v[10:11], v[76:77], v[112:113]
	v_fma_f64 v[88:89], v[4:5], v[88:89], -v[90:91]
	v_fma_f64 v[18:19], v[40:41], v[92:93], -v[94:95]
	v_fma_f64 v[20:21], v[38:39], v[104:105], v[118:119]
	v_add_f64 v[98:99], v[96:97], v[16:17]
	v_fma_f64 v[78:79], v[8:9], v[76:77], -v[78:79]
	v_fma_f64 v[22:23], v[36:37], v[104:105], -v[106:107]
	v_fma_f64 v[80:81], v[14:15], v[72:73], v[108:109]
	v_fma_f64 v[76:77], v[12:13], v[72:73], -v[74:75]
	v_fma_f64 v[12:13], v[34:35], v[82:83], v[110:111]
	v_fma_f64 v[14:15], v[32:33], v[82:83], -v[84:85]
	v_add_f64 v[82:83], v[88:89], -v[18:19]
	v_add_f64 v[94:95], v[86:87], v[20:21]
	v_add_f64 v[90:91], v[96:97], -v[16:17]
	v_mul_f64 v[4:5], v[98:99], s[2:3]
	v_add_f64 v[64:65], v[78:79], -v[22:23]
	v_add_f64 v[72:73], v[88:89], v[18:19]
	v_add_f64 v[74:75], v[86:87], -v[20:21]
	v_add_f64 v[92:93], v[80:81], v[12:13]
	v_add_f64 v[66:67], v[78:79], v[22:23]
	v_mul_f64 v[8:9], v[94:95], s[16:17]
	v_mul_f64 v[6:7], v[90:91], s[10:11]
	v_fma_f64 v[120:121], v[82:83], s[6:7], v[4:5]
	v_add_f64 v[62:63], v[76:77], -v[14:15]
	v_add_f64 v[68:69], v[80:81], -v[12:13]
	v_add_f64 v[84:85], v[70:71], v[24:25]
	v_mul_f64 v[10:11], v[74:75], s[22:23]
	v_mul_f64 v[104:105], v[92:93], s[14:15]
	v_fma_f64 v[4:5], v[82:83], s[10:11], v[4:5]
	v_fma_f64 v[122:123], v[72:73], s[2:3], v[6:7]
	;; [unrolled: 1-line block ×3, first 2 shown]
	v_fma_f64 v[6:7], v[72:73], s[2:3], -v[6:7]
	v_add_f64 v[120:121], v[2:3], v[120:121]
	v_add_f64 v[42:43], v[76:77], v[14:15]
	v_add_f64 v[38:39], v[60:61], -v[26:27]
	v_add_f64 v[40:41], v[70:71], -v[24:25]
	v_add_f64 v[36:37], v[56:57], v[52:53]
	v_mul_f64 v[106:107], v[68:69], s[20:21]
	v_mul_f64 v[108:109], v[84:85], s[24:25]
	v_fma_f64 v[128:129], v[66:67], s[16:17], v[10:11]
	v_fma_f64 v[8:9], v[64:65], s[22:23], v[8:9]
	v_add_f64 v[122:123], v[0:1], v[122:123]
	v_fma_f64 v[10:11], v[66:67], s[16:17], -v[10:11]
	v_fma_f64 v[130:131], v[62:63], s[26:27], v[104:105]
	v_add_f64 v[4:5], v[2:3], v[4:5]
	v_add_f64 v[6:7], v[0:1], v[6:7]
	;; [unrolled: 1-line block ×4, first 2 shown]
	v_add_f64 v[28:29], v[58:59], -v[54:55]
	v_add_f64 v[34:35], v[56:57], -v[52:53]
	v_mul_f64 v[110:111], v[40:41], s[38:39]
	v_mul_f64 v[112:113], v[36:37], s[30:31]
	;; [unrolled: 1-line block ×3, first 2 shown]
	v_fma_f64 v[132:133], v[42:43], s[14:15], v[106:107]
	v_fma_f64 v[104:105], v[62:63], s[20:21], v[104:105]
	v_add_f64 v[122:123], v[128:129], v[122:123]
	v_fma_f64 v[126:127], v[38:39], s[28:29], v[108:109]
	v_fma_f64 v[106:107], v[42:43], s[14:15], -v[106:107]
	v_add_f64 v[4:5], v[8:9], v[4:5]
	v_add_f64 v[6:7], v[10:11], v[6:7]
	;; [unrolled: 1-line block ×4, first 2 shown]
	v_mul_f64 v[114:115], v[34:35], s[34:35]
	v_mul_f64 v[118:119], v[94:95], s[30:31]
	;; [unrolled: 1-line block ×3, first 2 shown]
	v_fma_f64 v[128:129], v[32:33], s[24:25], v[110:111]
	v_fma_f64 v[8:9], v[28:29], s[36:37], v[112:113]
	v_add_f64 v[120:121], v[132:133], v[122:123]
	v_fma_f64 v[108:109], v[38:39], s[38:39], v[108:109]
	v_fma_f64 v[122:123], v[82:83], s[26:27], v[116:117]
	v_fma_f64 v[110:111], v[32:33], s[24:25], -v[110:111]
	v_add_f64 v[4:5], v[104:105], v[4:5]
	v_add_f64 v[6:7], v[106:107], v[6:7]
	;; [unrolled: 1-line block ×3, first 2 shown]
	v_fma_f64 v[104:105], v[30:31], s[30:31], v[114:115]
	v_add_f64 v[106:107], v[128:129], v[120:121]
	v_fma_f64 v[126:127], v[64:65], s[34:35], v[118:119]
	v_add_f64 v[122:123], v[2:3], v[122:123]
	;; [unrolled: 2-line block ×3, first 2 shown]
	v_add_f64 v[110:111], v[110:111], v[6:7]
	v_mul_f64 v[130:131], v[74:75], s[36:37]
	v_add_f64 v[6:7], v[8:9], v[10:11]
	v_fma_f64 v[8:9], v[28:29], s[34:35], v[112:113]
	v_mul_f64 v[120:121], v[92:93], s[16:17]
	v_add_f64 v[4:5], v[104:105], v[106:107]
	v_add_f64 v[104:105], v[126:127], v[122:123]
	;; [unrolled: 1-line block ×3, first 2 shown]
	v_fma_f64 v[114:115], v[30:31], s[30:31], -v[114:115]
	v_fma_f64 v[126:127], v[66:67], s[30:31], v[130:131]
	v_mul_f64 v[112:113], v[84:85], s[2:3]
	v_add_f64 v[10:11], v[8:9], v[108:109]
	v_fma_f64 v[8:9], v[82:83], s[20:21], v[116:117]
	v_fma_f64 v[108:109], v[72:73], s[14:15], -v[124:125]
	v_fma_f64 v[106:107], v[62:63], s[22:23], v[120:121]
	v_mul_f64 v[128:129], v[68:69], s[18:19]
	v_fma_f64 v[118:119], v[64:65], s[36:37], v[118:119]
	v_add_f64 v[116:117], v[126:127], v[122:123]
	v_mul_f64 v[124:125], v[40:41], s[10:11]
	v_fma_f64 v[120:121], v[62:63], s[18:19], v[120:121]
	v_add_f64 v[126:127], v[2:3], v[8:9]
	v_add_f64 v[8:9], v[114:115], v[110:111]
	v_fma_f64 v[110:111], v[66:67], s[30:31], -v[130:131]
	v_add_f64 v[108:109], v[0:1], v[108:109]
	v_mul_f64 v[114:115], v[98:99], s[30:31]
	v_add_f64 v[104:105], v[106:107], v[104:105]
	v_fma_f64 v[106:107], v[38:39], s[6:7], v[112:113]
	v_fma_f64 v[122:123], v[42:43], s[16:17], v[128:129]
	v_add_f64 v[118:119], v[118:119], v[126:127]
	v_mul_f64 v[126:127], v[94:95], s[2:3]
	v_mul_f64 v[130:131], v[90:91], s[34:35]
	v_add_f64 v[108:109], v[110:111], v[108:109]
	v_fma_f64 v[110:111], v[82:83], s[36:37], v[114:115]
	v_mul_f64 v[132:133], v[34:35], s[38:39]
	v_add_f64 v[104:105], v[106:107], v[104:105]
	v_add_f64 v[106:107], v[122:123], v[116:117]
	v_fma_f64 v[116:117], v[32:33], s[2:3], v[124:125]
	v_mul_f64 v[122:123], v[36:37], s[24:25]
	v_fma_f64 v[128:129], v[42:43], s[16:17], -v[128:129]
	v_add_f64 v[118:119], v[120:121], v[118:119]
	v_add_f64 v[110:111], v[2:3], v[110:111]
	v_fma_f64 v[120:121], v[64:65], s[10:11], v[126:127]
	v_fma_f64 v[134:135], v[72:73], s[30:31], v[130:131]
	v_mul_f64 v[136:137], v[74:75], s[6:7]
	v_mul_f64 v[140:141], v[92:93], s[24:25]
	v_add_f64 v[116:117], v[116:117], v[106:107]
	v_fma_f64 v[106:107], v[28:29], s[28:29], v[122:123]
	v_fma_f64 v[138:139], v[30:31], s[24:25], v[132:133]
	v_add_f64 v[108:109], v[128:129], v[108:109]
	v_fma_f64 v[112:113], v[38:39], s[10:11], v[112:113]
	v_fma_f64 v[124:125], v[32:33], s[2:3], -v[124:125]
	v_add_f64 v[110:111], v[120:121], v[110:111]
	v_add_f64 v[120:121], v[0:1], v[134:135]
	v_fma_f64 v[128:129], v[66:67], s[2:3], v[136:137]
	v_mul_f64 v[134:135], v[68:69], s[38:39]
	v_fma_f64 v[142:143], v[62:63], s[28:29], v[140:141]
	v_mul_f64 v[144:145], v[84:85], s[16:17]
	v_add_f64 v[106:107], v[106:107], v[104:105]
	v_add_f64 v[104:105], v[138:139], v[116:117]
	;; [unrolled: 1-line block ×3, first 2 shown]
	v_fma_f64 v[116:117], v[28:29], s[38:39], v[122:123]
	v_add_f64 v[118:119], v[128:129], v[120:121]
	v_fma_f64 v[120:121], v[42:43], s[24:25], v[134:135]
	v_add_f64 v[122:123], v[142:143], v[110:111]
	v_mul_f64 v[128:129], v[40:41], s[18:19]
	v_fma_f64 v[138:139], v[38:39], s[22:23], v[144:145]
	v_add_f64 v[108:109], v[124:125], v[108:109]
	v_mul_f64 v[124:125], v[36:37], s[14:15]
	v_fma_f64 v[132:133], v[30:31], s[24:25], -v[132:133]
	v_fma_f64 v[114:115], v[82:83], s[34:35], v[114:115]
	v_add_f64 v[110:111], v[116:117], v[112:113]
	v_add_f64 v[112:113], v[120:121], v[118:119]
	v_fma_f64 v[116:117], v[32:33], s[16:17], v[128:129]
	v_add_f64 v[118:119], v[138:139], v[122:123]
	v_fma_f64 v[120:121], v[72:73], s[30:31], -v[130:131]
	v_fma_f64 v[122:123], v[28:29], s[26:27], v[124:125]
	v_mul_f64 v[130:131], v[98:99], s[24:25]
	v_add_f64 v[108:109], v[132:133], v[108:109]
	v_fma_f64 v[126:127], v[64:65], s[6:7], v[126:127]
	v_add_f64 v[132:133], v[2:3], v[114:115]
	v_add_f64 v[112:113], v[116:117], v[112:113]
	v_fma_f64 v[116:117], v[66:67], s[2:3], -v[136:137]
	v_add_f64 v[120:121], v[0:1], v[120:121]
	v_add_f64 v[114:115], v[122:123], v[118:119]
	v_fma_f64 v[118:119], v[82:83], s[38:39], v[130:131]
	v_mul_f64 v[122:123], v[94:95], s[14:15]
	v_fma_f64 v[138:139], v[62:63], s[38:39], v[140:141]
	v_add_f64 v[126:127], v[126:127], v[132:133]
	v_mul_f64 v[132:133], v[90:91], s[28:29]
	v_mul_f64 v[136:137], v[34:35], s[20:21]
	v_add_f64 v[116:117], v[116:117], v[120:121]
	v_fma_f64 v[120:121], v[42:43], s[24:25], -v[134:135]
	v_add_f64 v[118:119], v[2:3], v[118:119]
	v_fma_f64 v[134:135], v[64:65], s[26:27], v[122:123]
	v_mul_f64 v[140:141], v[92:93], s[2:3]
	v_mul_f64 v[148:149], v[74:75], s[20:21]
	v_fma_f64 v[146:147], v[72:73], s[24:25], v[132:133]
	v_add_f64 v[126:127], v[138:139], v[126:127]
	v_fma_f64 v[138:139], v[38:39], s[18:19], v[144:145]
	v_fma_f64 v[142:143], v[30:31], s[14:15], v[136:137]
	v_add_f64 v[116:117], v[120:121], v[116:117]
	v_add_f64 v[118:119], v[134:135], v[118:119]
	v_fma_f64 v[120:121], v[62:63], s[10:11], v[140:141]
	v_mul_f64 v[134:135], v[84:85], s[30:31]
	v_add_f64 v[144:145], v[0:1], v[146:147]
	v_fma_f64 v[146:147], v[66:67], s[14:15], v[148:149]
	v_mul_f64 v[150:151], v[68:69], s[6:7]
	v_add_f64 v[126:127], v[138:139], v[126:127]
	v_fma_f64 v[124:125], v[28:29], s[20:21], v[124:125]
	v_add_f64 v[112:113], v[142:143], v[112:113]
	v_add_f64 v[120:121], v[120:121], v[118:119]
	v_fma_f64 v[138:139], v[38:39], s[34:35], v[134:135]
	v_fma_f64 v[122:123], v[64:65], s[20:21], v[122:123]
	v_add_f64 v[142:143], v[146:147], v[144:145]
	v_fma_f64 v[144:145], v[42:43], s[2:3], v[150:151]
	v_mul_f64 v[146:147], v[36:37], s[16:17]
	v_add_f64 v[118:119], v[124:125], v[126:127]
	v_fma_f64 v[124:125], v[82:83], s[28:29], v[130:131]
	v_add_f64 v[88:89], v[0:1], v[88:89]
	v_add_f64 v[120:121], v[138:139], v[120:121]
	v_fma_f64 v[128:129], v[32:33], s[16:17], -v[128:129]
	v_fma_f64 v[136:137], v[30:31], s[14:15], -v[136:137]
	v_add_f64 v[126:127], v[144:145], v[142:143]
	v_fma_f64 v[142:143], v[28:29], s[18:19], v[146:147]
	v_mul_f64 v[144:145], v[98:99], s[16:17]
	v_add_f64 v[124:125], v[2:3], v[124:125]
	v_add_f64 v[78:79], v[88:89], v[78:79]
	v_fma_f64 v[130:131], v[72:73], s[24:25], -v[132:133]
	v_add_f64 v[116:117], v[128:129], v[116:117]
	v_mul_f64 v[128:129], v[40:41], s[36:37]
	v_mul_f64 v[138:139], v[34:35], s[22:23]
	v_add_f64 v[98:99], v[142:143], v[120:121]
	v_mul_f64 v[88:89], v[90:91], s[18:19]
	v_add_f64 v[120:121], v[122:123], v[124:125]
	v_add_f64 v[124:125], v[2:3], v[96:97]
	;; [unrolled: 1-line block ×4, first 2 shown]
	v_fma_f64 v[132:133], v[32:33], s[30:31], v[128:129]
	v_fma_f64 v[136:137], v[66:67], s[14:15], -v[148:149]
	v_add_f64 v[130:131], v[0:1], v[130:131]
	v_fma_f64 v[122:123], v[62:63], s[6:7], v[140:141]
	v_mul_f64 v[94:95], v[94:95], s[24:25]
	v_add_f64 v[86:87], v[124:125], v[86:87]
	v_add_f64 v[60:61], v[76:77], v[60:61]
	v_fma_f64 v[78:79], v[72:73], s[16:17], v[88:89]
	v_add_f64 v[126:127], v[132:133], v[126:127]
	v_fma_f64 v[132:133], v[30:31], s[16:17], v[138:139]
	v_add_f64 v[130:131], v[136:137], v[130:131]
	v_fma_f64 v[136:137], v[42:43], s[2:3], -v[150:151]
	v_mul_f64 v[74:75], v[74:75], s[28:29]
	v_add_f64 v[80:81], v[86:87], v[80:81]
	v_add_f64 v[58:59], v[60:61], v[58:59]
	v_fma_f64 v[72:73], v[72:73], s[16:17], -v[88:89]
	v_add_f64 v[120:121], v[122:123], v[120:121]
	v_add_f64 v[96:97], v[132:133], v[126:127]
	v_fma_f64 v[126:127], v[82:83], s[22:23], v[144:145]
	v_fma_f64 v[82:83], v[82:83], s[18:19], v[144:145]
	;; [unrolled: 1-line block ×3, first 2 shown]
	v_add_f64 v[70:71], v[80:81], v[70:71]
	v_add_f64 v[54:55], v[58:59], v[54:55]
	;; [unrolled: 1-line block ×3, first 2 shown]
	v_fma_f64 v[130:131], v[64:65], s[38:39], v[94:95]
	v_mul_f64 v[86:87], v[92:93], s[30:31]
	v_add_f64 v[126:127], v[2:3], v[126:127]
	v_add_f64 v[76:77], v[0:1], v[78:79]
	v_fma_f64 v[88:89], v[66:67], s[24:25], v[74:75]
	v_add_f64 v[56:57], v[70:71], v[56:57]
	v_add_f64 v[2:3], v[2:3], v[82:83]
	v_mul_f64 v[60:61], v[68:69], s[34:35]
	v_add_f64 v[0:1], v[0:1], v[72:73]
	v_fma_f64 v[64:65], v[64:65], s[28:29], v[94:95]
	v_fma_f64 v[66:67], v[66:67], s[24:25], -v[74:75]
	v_add_f64 v[26:27], v[54:55], v[26:27]
	v_add_f64 v[90:91], v[122:123], v[120:121]
	;; [unrolled: 1-line block ×4, first 2 shown]
	v_fma_f64 v[80:81], v[62:63], s[36:37], v[86:87]
	v_mul_f64 v[84:85], v[84:85], s[14:15]
	v_fma_f64 v[56:57], v[42:43], s[30:31], v[60:61]
	v_fma_f64 v[58:59], v[62:63], s[34:35], v[86:87]
	v_add_f64 v[2:3], v[64:65], v[2:3]
	v_fma_f64 v[42:43], v[42:43], s[30:31], -v[60:61]
	v_add_f64 v[24:25], v[52:53], v[24:25]
	v_mul_f64 v[40:41], v[40:41], s[20:21]
	v_add_f64 v[0:1], v[66:67], v[0:1]
	v_add_f64 v[70:71], v[88:89], v[76:77]
	v_add_f64 v[14:15], v[26:27], v[14:15]
	v_add_f64 v[78:79], v[80:81], v[120:121]
	v_fma_f64 v[80:81], v[38:39], s[26:27], v[84:85]
	v_fma_f64 v[38:39], v[38:39], s[20:21], v[84:85]
	v_add_f64 v[12:13], v[24:25], v[12:13]
	v_mul_f64 v[36:37], v[36:37], s[2:3]
	v_add_f64 v[2:3], v[58:59], v[2:3]
	v_fma_f64 v[54:55], v[32:33], s[14:15], -v[40:41]
	v_add_f64 v[0:1], v[42:43], v[0:1]
	v_mul_f64 v[24:25], v[34:35], s[10:11]
	v_fma_f64 v[128:129], v[32:33], s[30:31], -v[128:129]
	v_add_f64 v[52:53], v[56:57], v[70:71]
	v_fma_f64 v[26:27], v[32:33], s[14:15], v[40:41]
	v_add_f64 v[12:13], v[12:13], v[20:21]
	v_add_f64 v[22:23], v[14:15], v[22:23]
	v_fma_f64 v[122:123], v[28:29], s[22:23], v[146:147]
	v_fma_f64 v[32:33], v[28:29], s[6:7], v[36:37]
	;; [unrolled: 1-line block ×3, first 2 shown]
	v_add_f64 v[34:35], v[38:39], v[2:3]
	v_add_f64 v[36:37], v[54:55], v[0:1]
	v_fma_f64 v[38:39], v[30:31], s[2:3], -v[24:25]
	v_add_f64 v[92:93], v[128:129], v[124:125]
	v_fma_f64 v[124:125], v[30:31], s[16:17], -v[138:139]
	v_add_f64 v[68:69], v[80:81], v[78:79]
	v_fma_f64 v[30:31], v[30:31], s[2:3], v[24:25]
	v_add_f64 v[26:27], v[26:27], v[52:53]
	v_add_f64 v[20:21], v[12:13], v[16:17]
	;; [unrolled: 1-line block ×7, first 2 shown]
	v_lshrrev_b32_e32 v16, 4, v44
	v_mul_u32_u24_e32 v16, 0xb0, v16
	v_or_b32_e32 v16, v16, v50
	v_lshl_add_u32 v16, v16, 4, 0
	v_add_f64 v[24:25], v[32:33], v[68:69]
	v_add_f64 v[22:23], v[30:31], v[26:27]
	ds_write_b128 v16, v[18:21]
	ds_write_b128 v16, v[12:15] offset:256
	ds_write_b128 v16, v[0:3] offset:512
	;; [unrolled: 1-line block ×10, first 2 shown]
.LBB0_31:
	s_or_b64 exec, exec, s[4:5]
	v_mul_u32_u24_e32 v0, 6, v44
	v_lshlrev_b32_e32 v24, 4, v0
	s_waitcnt lgkmcnt(0)
	s_barrier
	global_load_dwordx4 v[0:3], v24, s[8:9] offset:2784
	global_load_dwordx4 v[4:7], v24, s[8:9] offset:2800
	;; [unrolled: 1-line block ×6, first 2 shown]
	ds_read_b128 v[24:27], v103
	ds_read_b128 v[28:31], v102
	;; [unrolled: 1-line block ×4, first 2 shown]
	ds_read_b128 v[40:43], v100 offset:11264
	ds_read_b128 v[52:55], v100 offset:14080
	;; [unrolled: 1-line block ×3, first 2 shown]
	s_mov_b32 s4, 0x37e14327
	s_mov_b32 s2, 0x36b3c0b5
	;; [unrolled: 1-line block ×16, first 2 shown]
	s_waitcnt vmcnt(0) lgkmcnt(0)
	s_barrier
	v_mul_f64 v[60:61], v[26:27], v[2:3]
	v_mul_f64 v[2:3], v[24:25], v[2:3]
	;; [unrolled: 1-line block ×12, first 2 shown]
	v_fma_f64 v[24:25], v[24:25], v[0:1], -v[60:61]
	v_fma_f64 v[0:1], v[26:27], v[0:1], v[2:3]
	v_fma_f64 v[2:3], v[28:29], v[4:5], -v[62:63]
	v_fma_f64 v[4:5], v[30:31], v[4:5], v[6:7]
	;; [unrolled: 2-line block ×6, first 2 shown]
	v_add_f64 v[14:15], v[24:25], v[6:7]
	v_add_f64 v[26:27], v[0:1], v[16:17]
	v_add_f64 v[6:7], v[24:25], -v[6:7]
	v_add_f64 v[0:1], v[0:1], -v[16:17]
	v_add_f64 v[16:17], v[2:3], v[10:11]
	v_add_f64 v[24:25], v[4:5], v[20:21]
	v_add_f64 v[2:3], v[2:3], -v[10:11]
	v_add_f64 v[4:5], v[4:5], -v[20:21]
	;; [unrolled: 4-line block ×4, first 2 shown]
	v_add_f64 v[14:15], v[14:15], -v[10:11]
	v_add_f64 v[26:27], v[26:27], -v[20:21]
	;; [unrolled: 1-line block ×4, first 2 shown]
	v_add_f64 v[32:33], v[18:19], v[2:3]
	v_add_f64 v[34:35], v[8:9], v[4:5]
	v_add_f64 v[40:41], v[18:19], -v[2:3]
	v_add_f64 v[42:43], v[8:9], -v[4:5]
	v_add_f64 v[10:11], v[10:11], v[12:13]
	v_add_f64 v[12:13], v[20:21], v[22:23]
	v_add_f64 v[52:53], v[2:3], -v[6:7]
	v_add_f64 v[4:5], v[4:5], -v[0:1]
	;; [unrolled: 1-line block ×4, first 2 shown]
	v_add_f64 v[6:7], v[32:33], v[6:7]
	v_add_f64 v[20:21], v[34:35], v[0:1]
	v_mul_f64 v[14:15], v[14:15], s[4:5]
	v_mul_f64 v[22:23], v[26:27], s[4:5]
	v_mul_f64 v[26:27], v[16:17], s[2:3]
	v_mul_f64 v[32:33], v[24:25], s[2:3]
	v_mul_f64 v[34:35], v[40:41], s[14:15]
	v_mul_f64 v[40:41], v[42:43], s[14:15]
	v_add_f64 v[0:1], v[36:37], v[10:11]
	v_add_f64 v[2:3], v[38:39], v[12:13]
	v_mul_f64 v[42:43], v[52:53], s[6:7]
	v_mul_f64 v[54:55], v[4:5], s[6:7]
	v_fma_f64 v[16:17], v[16:17], s[2:3], v[14:15]
	v_fma_f64 v[24:25], v[24:25], s[2:3], v[22:23]
	v_fma_f64 v[26:27], v[28:29], s[16:17], -v[26:27]
	v_fma_f64 v[32:33], v[30:31], s[16:17], -v[32:33]
	s_mov_b32 s17, 0xbfe77f67
	v_fma_f64 v[36:37], v[18:19], s[18:19], v[34:35]
	v_fma_f64 v[38:39], v[8:9], s[18:19], v[40:41]
	s_mov_b32 s19, 0xbfd5d0dc
	v_fma_f64 v[10:11], v[10:11], s[10:11], v[0:1]
	v_fma_f64 v[12:13], v[12:13], s[10:11], v[2:3]
	v_fma_f64 v[4:5], v[4:5], s[6:7], -v[40:41]
	v_fma_f64 v[14:15], v[28:29], s[16:17], -v[14:15]
	;; [unrolled: 1-line block ×6, first 2 shown]
	v_fma_f64 v[28:29], v[6:7], s[20:21], v[36:37]
	v_fma_f64 v[30:31], v[20:21], s[20:21], v[38:39]
	v_add_f64 v[40:41], v[16:17], v[10:11]
	v_add_f64 v[42:43], v[24:25], v[12:13]
	v_fma_f64 v[36:37], v[20:21], s[20:21], v[4:5]
	v_fma_f64 v[38:39], v[6:7], s[20:21], v[18:19]
	;; [unrolled: 1-line block ×3, first 2 shown]
	v_add_f64 v[24:25], v[14:15], v[10:11]
	v_add_f64 v[22:23], v[22:23], v[12:13]
	v_fma_f64 v[34:35], v[6:7], s[20:21], v[34:35]
	v_add_f64 v[16:17], v[26:27], v[10:11]
	v_add_f64 v[18:19], v[32:33], v[12:13]
	;; [unrolled: 1-line block ×3, first 2 shown]
	v_add_f64 v[6:7], v[42:43], -v[28:29]
	v_add_f64 v[26:27], v[28:29], v[42:43]
	v_add_f64 v[8:9], v[20:21], v[24:25]
	v_add_f64 v[10:11], v[22:23], -v[38:39]
	v_add_f64 v[20:21], v[24:25], -v[20:21]
	;; [unrolled: 1-line block ×3, first 2 shown]
	v_add_f64 v[14:15], v[34:35], v[18:19]
	v_add_f64 v[16:17], v[36:37], v[16:17]
	v_add_f64 v[18:19], v[18:19], -v[34:35]
	v_add_f64 v[22:23], v[38:39], v[22:23]
	v_add_f64 v[24:25], v[40:41], -v[30:31]
	ds_write_b128 v100, v[0:3]
	ds_write_b128 v100, v[4:7] offset:2816
	ds_write_b128 v100, v[8:11] offset:5632
	;; [unrolled: 1-line block ×6, first 2 shown]
	s_waitcnt lgkmcnt(0)
	s_barrier
	ds_read_b128 v[0:3], v100
	s_add_u32 s6, s8, 0x4ce0
	s_addc_u32 s7, s9, 0
	v_sub_u32_e32 v8, 0, v45
	v_cmp_ne_u32_e64 s[2:3], 0, v44
                                        ; implicit-def: $vgpr6_vgpr7
                                        ; implicit-def: $vgpr4_vgpr5
	s_and_saveexec_b64 s[4:5], s[2:3]
	s_xor_b64 s[4:5], exec, s[4:5]
	s_cbranch_execz .LBB0_33
; %bb.32:
	v_mov_b32_e32 v45, 0
	v_lshlrev_b64 v[4:5], 4, v[44:45]
	v_mov_b32_e32 v6, s7
	v_add_co_u32_e64 v4, s[2:3], s6, v4
	v_addc_co_u32_e64 v5, s[2:3], v6, v5, s[2:3]
	global_load_dwordx4 v[9:12], v[4:5], off
	ds_read_b128 v[4:7], v8 offset:19712
	s_waitcnt lgkmcnt(0)
	v_add_f64 v[13:14], v[0:1], -v[4:5]
	v_add_f64 v[15:16], v[2:3], v[6:7]
	v_add_f64 v[2:3], v[2:3], -v[6:7]
	v_add_f64 v[0:1], v[0:1], v[4:5]
	v_mul_f64 v[6:7], v[13:14], 0.5
	v_mul_f64 v[13:14], v[15:16], 0.5
	;; [unrolled: 1-line block ×3, first 2 shown]
	s_waitcnt vmcnt(0)
	v_mul_f64 v[4:5], v[6:7], v[11:12]
	v_fma_f64 v[15:16], v[13:14], v[11:12], v[2:3]
	v_fma_f64 v[2:3], v[13:14], v[11:12], -v[2:3]
	v_fma_f64 v[11:12], v[0:1], 0.5, v[4:5]
	v_fma_f64 v[0:1], v[0:1], 0.5, -v[4:5]
	v_fma_f64 v[15:16], -v[9:10], v[6:7], v[15:16]
	v_fma_f64 v[2:3], -v[9:10], v[6:7], v[2:3]
	ds_write_b64 v100, v[15:16] offset:8
	ds_write_b64 v8, v[2:3] offset:19720
	v_fma_f64 v[4:5], v[13:14], v[9:10], v[11:12]
	v_fma_f64 v[6:7], -v[13:14], v[9:10], v[0:1]
                                        ; implicit-def: $vgpr0_vgpr1
.LBB0_33:
	s_andn2_saveexec_b64 s[2:3], s[4:5]
	s_cbranch_execz .LBB0_35
; %bb.34:
	s_mov_b32 s4, 0
	s_mov_b32 s5, s4
	v_mov_b32_e32 v10, s5
	s_waitcnt lgkmcnt(0)
	v_add_f64 v[4:5], v[0:1], v[2:3]
	v_mov_b32_e32 v9, s4
	v_add_f64 v[6:7], v[0:1], -v[2:3]
	ds_write_b64 v100, v[9:10] offset:8
	ds_write_b64 v8, v[9:10] offset:19720
	v_mov_b32_e32 v2, 0
	ds_read_b64 v[0:1], v2 offset:9864
	s_waitcnt lgkmcnt(0)
	v_xor_b32_e32 v1, 0x80000000, v1
	ds_write_b64 v2, v[0:1] offset:9864
.LBB0_35:
	s_or_b64 exec, exec, s[2:3]
	v_mov_b32_e32 v50, 0
	s_waitcnt lgkmcnt(0)
	v_lshlrev_b64 v[0:1], 4, v[49:50]
	v_mov_b32_e32 v2, s7
	v_add_co_u32_e64 v0, s[2:3], s6, v0
	v_addc_co_u32_e64 v1, s[2:3], v2, v1, s[2:3]
	global_load_dwordx4 v[0:3], v[0:1], off
	v_mov_b32_e32 v52, v50
	v_lshlrev_b64 v[9:10], 4, v[51:52]
	v_mov_b32_e32 v11, s7
	v_add_co_u32_e64 v9, s[2:3], s6, v9
	v_addc_co_u32_e64 v10, s[2:3], v11, v10, s[2:3]
	global_load_dwordx4 v[9:12], v[9:10], off
	ds_write_b64 v100, v[4:5]
	ds_write_b64 v8, v[6:7] offset:19712
	ds_read_b128 v[4:7], v103
	ds_read_b128 v[13:16], v8 offset:16896
	s_waitcnt lgkmcnt(0)
	v_add_f64 v[17:18], v[4:5], -v[13:14]
	v_add_f64 v[19:20], v[6:7], v[15:16]
	v_add_f64 v[6:7], v[6:7], -v[15:16]
	v_add_f64 v[4:5], v[4:5], v[13:14]
	v_mul_f64 v[15:16], v[17:18], 0.5
	v_mul_f64 v[17:18], v[19:20], 0.5
	;; [unrolled: 1-line block ×3, first 2 shown]
	s_waitcnt vmcnt(1)
	v_mul_f64 v[13:14], v[15:16], v[2:3]
	v_fma_f64 v[19:20], v[17:18], v[2:3], v[6:7]
	v_fma_f64 v[2:3], v[17:18], v[2:3], -v[6:7]
	v_fma_f64 v[6:7], v[4:5], 0.5, v[13:14]
	v_fma_f64 v[13:14], v[4:5], 0.5, -v[13:14]
	v_fma_f64 v[4:5], -v[0:1], v[15:16], v[19:20]
	v_fma_f64 v[15:16], -v[0:1], v[15:16], v[2:3]
	v_fma_f64 v[2:3], v[17:18], v[0:1], v[6:7]
	v_fma_f64 v[13:14], -v[17:18], v[0:1], v[13:14]
	ds_write_b128 v103, v[2:5]
	ds_write_b128 v8, v[13:16] offset:16896
	ds_read_b128 v[0:3], v102
	ds_read_b128 v[4:7], v8 offset:14080
	s_waitcnt lgkmcnt(0)
	v_add_f64 v[13:14], v[0:1], -v[4:5]
	v_add_f64 v[15:16], v[2:3], v[6:7]
	v_add_f64 v[2:3], v[2:3], -v[6:7]
	v_add_f64 v[0:1], v[0:1], v[4:5]
	v_mul_f64 v[6:7], v[13:14], 0.5
	v_mul_f64 v[13:14], v[15:16], 0.5
	;; [unrolled: 1-line block ×3, first 2 shown]
	s_waitcnt vmcnt(0)
	v_mul_f64 v[4:5], v[6:7], v[11:12]
	v_fma_f64 v[15:16], v[13:14], v[11:12], v[2:3]
	v_fma_f64 v[11:12], v[13:14], v[11:12], -v[2:3]
	v_fma_f64 v[17:18], v[0:1], 0.5, v[4:5]
	v_fma_f64 v[4:5], v[0:1], 0.5, -v[4:5]
	v_fma_f64 v[2:3], -v[9:10], v[6:7], v[15:16]
	v_fma_f64 v[6:7], -v[9:10], v[6:7], v[11:12]
	v_fma_f64 v[0:1], v[13:14], v[9:10], v[17:18]
	v_fma_f64 v[4:5], -v[13:14], v[9:10], v[4:5]
	ds_write_b128 v102, v[0:3]
	ds_write_b128 v8, v[4:7] offset:14080
	s_and_saveexec_b64 s[2:3], vcc
	s_cbranch_execz .LBB0_37
; %bb.36:
	v_mov_b32_e32 v49, v50
	v_lshlrev_b64 v[0:1], 4, v[48:49]
	v_mov_b32_e32 v2, s7
	v_add_co_u32_e32 v0, vcc, s6, v0
	v_addc_co_u32_e32 v1, vcc, v2, v1, vcc
	global_load_dwordx4 v[0:3], v[0:1], off
	ds_read_b128 v[4:7], v101
	ds_read_b128 v[9:12], v8 offset:11264
	s_waitcnt lgkmcnt(0)
	v_add_f64 v[13:14], v[4:5], -v[9:10]
	v_add_f64 v[15:16], v[6:7], v[11:12]
	v_add_f64 v[6:7], v[6:7], -v[11:12]
	v_add_f64 v[4:5], v[4:5], v[9:10]
	v_mul_f64 v[11:12], v[13:14], 0.5
	v_mul_f64 v[13:14], v[15:16], 0.5
	;; [unrolled: 1-line block ×3, first 2 shown]
	s_waitcnt vmcnt(0)
	v_mul_f64 v[9:10], v[11:12], v[2:3]
	v_fma_f64 v[15:16], v[13:14], v[2:3], v[6:7]
	v_fma_f64 v[2:3], v[13:14], v[2:3], -v[6:7]
	v_fma_f64 v[6:7], v[4:5], 0.5, v[9:10]
	v_fma_f64 v[9:10], v[4:5], 0.5, -v[9:10]
	v_fma_f64 v[4:5], -v[0:1], v[11:12], v[15:16]
	v_fma_f64 v[11:12], -v[0:1], v[11:12], v[2:3]
	v_fma_f64 v[2:3], v[13:14], v[0:1], v[6:7]
	v_fma_f64 v[9:10], -v[13:14], v[0:1], v[9:10]
	ds_write_b128 v101, v[2:5]
	ds_write_b128 v8, v[9:12] offset:11264
.LBB0_37:
	s_or_b64 exec, exec, s[2:3]
	s_waitcnt lgkmcnt(0)
	s_barrier
	s_and_saveexec_b64 s[2:3], s[0:1]
	s_cbranch_execz .LBB0_40
; %bb.38:
	v_mov_b32_e32 v45, 0
	ds_read_b128 v[2:5], v100
	ds_read_b128 v[6:9], v100 offset:2816
	v_mov_b32_e32 v0, s13
	v_add_co_u32_e32 v1, vcc, s12, v46
	v_lshlrev_b64 v[10:11], 4, v[44:45]
	v_addc_co_u32_e32 v0, vcc, v0, v47, vcc
	v_add_co_u32_e32 v10, vcc, v1, v10
	v_addc_co_u32_e32 v11, vcc, v0, v11, vcc
	s_waitcnt lgkmcnt(1)
	global_store_dwordx4 v[10:11], v[2:5], off
	s_waitcnt lgkmcnt(0)
	global_store_dwordx4 v[10:11], v[6:9], off offset:2816
	ds_read_b128 v[2:5], v100 offset:5632
	ds_read_b128 v[6:9], v100 offset:8448
	v_add_co_u32_e32 v12, vcc, 0x1000, v10
	v_addc_co_u32_e32 v13, vcc, 0, v11, vcc
	s_waitcnt lgkmcnt(1)
	global_store_dwordx4 v[12:13], v[2:5], off offset:1536
	v_add_co_u32_e32 v12, vcc, 0x2000, v10
	ds_read_b128 v[2:5], v100 offset:11264
	v_addc_co_u32_e32 v13, vcc, 0, v11, vcc
	s_waitcnt lgkmcnt(1)
	global_store_dwordx4 v[12:13], v[6:9], off offset:256
	ds_read_b128 v[6:9], v100 offset:14080
	s_waitcnt lgkmcnt(1)
	global_store_dwordx4 v[12:13], v[2:5], off offset:3072
	s_movk_i32 s0, 0xaf
	v_add_co_u32_e32 v2, vcc, 0x3000, v10
	v_addc_co_u32_e32 v3, vcc, 0, v11, vcc
	s_waitcnt lgkmcnt(0)
	global_store_dwordx4 v[2:3], v[6:9], off offset:1792
	ds_read_b128 v[2:5], v100 offset:16896
	v_add_co_u32_e32 v6, vcc, 0x4000, v10
	v_addc_co_u32_e32 v7, vcc, 0, v11, vcc
	v_cmp_eq_u32_e32 vcc, s0, v44
	s_waitcnt lgkmcnt(0)
	global_store_dwordx4 v[6:7], v[2:5], off offset:512
	s_and_b64 exec, exec, vcc
	s_cbranch_execz .LBB0_40
; %bb.39:
	ds_read_b128 v[2:5], v45 offset:19712
	v_add_co_u32_e32 v6, vcc, 0x4000, v1
	v_addc_co_u32_e32 v7, vcc, 0, v0, vcc
	s_waitcnt lgkmcnt(0)
	global_store_dwordx4 v[6:7], v[2:5], off offset:3328
.LBB0_40:
	s_endpgm
	.section	.rodata,"a",@progbits
	.p2align	6, 0x0
	.amdhsa_kernel fft_rtc_fwd_len1232_factors_2_2_2_2_11_7_wgs_176_tpt_176_halfLds_dp_ip_CI_unitstride_sbrr_R2C_dirReg
		.amdhsa_group_segment_fixed_size 0
		.amdhsa_private_segment_fixed_size 0
		.amdhsa_kernarg_size 88
		.amdhsa_user_sgpr_count 6
		.amdhsa_user_sgpr_private_segment_buffer 1
		.amdhsa_user_sgpr_dispatch_ptr 0
		.amdhsa_user_sgpr_queue_ptr 0
		.amdhsa_user_sgpr_kernarg_segment_ptr 1
		.amdhsa_user_sgpr_dispatch_id 0
		.amdhsa_user_sgpr_flat_scratch_init 0
		.amdhsa_user_sgpr_private_segment_size 0
		.amdhsa_uses_dynamic_stack 0
		.amdhsa_system_sgpr_private_segment_wavefront_offset 0
		.amdhsa_system_sgpr_workgroup_id_x 1
		.amdhsa_system_sgpr_workgroup_id_y 0
		.amdhsa_system_sgpr_workgroup_id_z 0
		.amdhsa_system_sgpr_workgroup_info 0
		.amdhsa_system_vgpr_workitem_id 0
		.amdhsa_next_free_vgpr 152
		.amdhsa_next_free_sgpr 40
		.amdhsa_reserve_vcc 1
		.amdhsa_reserve_flat_scratch 0
		.amdhsa_float_round_mode_32 0
		.amdhsa_float_round_mode_16_64 0
		.amdhsa_float_denorm_mode_32 3
		.amdhsa_float_denorm_mode_16_64 3
		.amdhsa_dx10_clamp 1
		.amdhsa_ieee_mode 1
		.amdhsa_fp16_overflow 0
		.amdhsa_exception_fp_ieee_invalid_op 0
		.amdhsa_exception_fp_denorm_src 0
		.amdhsa_exception_fp_ieee_div_zero 0
		.amdhsa_exception_fp_ieee_overflow 0
		.amdhsa_exception_fp_ieee_underflow 0
		.amdhsa_exception_fp_ieee_inexact 0
		.amdhsa_exception_int_div_zero 0
	.end_amdhsa_kernel
	.text
.Lfunc_end0:
	.size	fft_rtc_fwd_len1232_factors_2_2_2_2_11_7_wgs_176_tpt_176_halfLds_dp_ip_CI_unitstride_sbrr_R2C_dirReg, .Lfunc_end0-fft_rtc_fwd_len1232_factors_2_2_2_2_11_7_wgs_176_tpt_176_halfLds_dp_ip_CI_unitstride_sbrr_R2C_dirReg
                                        ; -- End function
	.section	.AMDGPU.csdata,"",@progbits
; Kernel info:
; codeLenInByte = 9060
; NumSgprs: 44
; NumVgprs: 152
; ScratchSize: 0
; MemoryBound: 0
; FloatMode: 240
; IeeeMode: 1
; LDSByteSize: 0 bytes/workgroup (compile time only)
; SGPRBlocks: 5
; VGPRBlocks: 37
; NumSGPRsForWavesPerEU: 44
; NumVGPRsForWavesPerEU: 152
; Occupancy: 1
; WaveLimiterHint : 1
; COMPUTE_PGM_RSRC2:SCRATCH_EN: 0
; COMPUTE_PGM_RSRC2:USER_SGPR: 6
; COMPUTE_PGM_RSRC2:TRAP_HANDLER: 0
; COMPUTE_PGM_RSRC2:TGID_X_EN: 1
; COMPUTE_PGM_RSRC2:TGID_Y_EN: 0
; COMPUTE_PGM_RSRC2:TGID_Z_EN: 0
; COMPUTE_PGM_RSRC2:TIDIG_COMP_CNT: 0
	.type	__hip_cuid_13e675d85060ddfd,@object ; @__hip_cuid_13e675d85060ddfd
	.section	.bss,"aw",@nobits
	.globl	__hip_cuid_13e675d85060ddfd
__hip_cuid_13e675d85060ddfd:
	.byte	0                               ; 0x0
	.size	__hip_cuid_13e675d85060ddfd, 1

	.ident	"AMD clang version 19.0.0git (https://github.com/RadeonOpenCompute/llvm-project roc-6.4.0 25133 c7fe45cf4b819c5991fe208aaa96edf142730f1d)"
	.section	".note.GNU-stack","",@progbits
	.addrsig
	.addrsig_sym __hip_cuid_13e675d85060ddfd
	.amdgpu_metadata
---
amdhsa.kernels:
  - .args:
      - .actual_access:  read_only
        .address_space:  global
        .offset:         0
        .size:           8
        .value_kind:     global_buffer
      - .offset:         8
        .size:           8
        .value_kind:     by_value
      - .actual_access:  read_only
        .address_space:  global
        .offset:         16
        .size:           8
        .value_kind:     global_buffer
      - .actual_access:  read_only
        .address_space:  global
        .offset:         24
        .size:           8
        .value_kind:     global_buffer
      - .offset:         32
        .size:           8
        .value_kind:     by_value
      - .actual_access:  read_only
        .address_space:  global
        .offset:         40
        .size:           8
        .value_kind:     global_buffer
      - .actual_access:  read_only
        .address_space:  global
        .offset:         48
        .size:           8
        .value_kind:     global_buffer
      - .offset:         56
        .size:           4
        .value_kind:     by_value
      - .actual_access:  read_only
        .address_space:  global
        .offset:         64
        .size:           8
        .value_kind:     global_buffer
      - .actual_access:  read_only
        .address_space:  global
        .offset:         72
        .size:           8
        .value_kind:     global_buffer
      - .address_space:  global
        .offset:         80
        .size:           8
        .value_kind:     global_buffer
    .group_segment_fixed_size: 0
    .kernarg_segment_align: 8
    .kernarg_segment_size: 88
    .language:       OpenCL C
    .language_version:
      - 2
      - 0
    .max_flat_workgroup_size: 176
    .name:           fft_rtc_fwd_len1232_factors_2_2_2_2_11_7_wgs_176_tpt_176_halfLds_dp_ip_CI_unitstride_sbrr_R2C_dirReg
    .private_segment_fixed_size: 0
    .sgpr_count:     44
    .sgpr_spill_count: 0
    .symbol:         fft_rtc_fwd_len1232_factors_2_2_2_2_11_7_wgs_176_tpt_176_halfLds_dp_ip_CI_unitstride_sbrr_R2C_dirReg.kd
    .uniform_work_group_size: 1
    .uses_dynamic_stack: false
    .vgpr_count:     152
    .vgpr_spill_count: 0
    .wavefront_size: 64
amdhsa.target:   amdgcn-amd-amdhsa--gfx906
amdhsa.version:
  - 1
  - 2
...

	.end_amdgpu_metadata
